;; amdgpu-corpus repo=ROCm/rocFFT kind=compiled arch=gfx906 opt=O3
	.text
	.amdgcn_target "amdgcn-amd-amdhsa--gfx906"
	.amdhsa_code_object_version 6
	.protected	bluestein_single_back_len196_dim1_dp_op_CI_CI ; -- Begin function bluestein_single_back_len196_dim1_dp_op_CI_CI
	.globl	bluestein_single_back_len196_dim1_dp_op_CI_CI
	.p2align	8
	.type	bluestein_single_back_len196_dim1_dp_op_CI_CI,@function
bluestein_single_back_len196_dim1_dp_op_CI_CI: ; @bluestein_single_back_len196_dim1_dp_op_CI_CI
; %bb.0:
	s_load_dwordx4 s[12:15], s[4:5], 0x28
	v_mul_u32_u24_e32 v1, 0x925, v0
	v_lshrrev_b32_e32 v18, 16, v1
	v_lshl_add_u32 v98, s6, 1, v18
	v_mov_b32_e32 v99, 0
	s_waitcnt lgkmcnt(0)
	v_cmp_gt_u64_e32 vcc, s[12:13], v[98:99]
	s_and_saveexec_b64 s[0:1], vcc
	s_cbranch_execz .LBB0_15
; %bb.1:
	s_load_dwordx4 s[8:11], s[4:5], 0x18
	v_mul_lo_u16_e32 v1, 28, v18
	v_sub_u16_e32 v100, v0, v1
	v_lshlrev_b32_e32 v88, 4, v100
	v_and_b32_e32 v18, 1, v18
	s_waitcnt lgkmcnt(0)
	s_load_dwordx4 s[0:3], s[8:9], 0x0
	v_mov_b32_e32 v35, 0xc40
	s_waitcnt lgkmcnt(0)
	v_mad_u64_u32 v[0:1], s[6:7], s2, v98, 0
	v_mad_u64_u32 v[2:3], s[6:7], s0, v100, 0
	s_load_dwordx2 s[6:7], s[4:5], 0x0
	v_mad_u64_u32 v[4:5], s[2:3], s3, v98, v[1:2]
	v_mad_u64_u32 v[5:6], s[2:3], s1, v100, v[3:4]
	v_mov_b32_e32 v1, v4
	v_lshlrev_b64 v[0:1], 4, v[0:1]
	v_mov_b32_e32 v6, s15
	v_mov_b32_e32 v3, v5
	v_add_co_u32_e32 v4, vcc, s14, v0
	v_addc_co_u32_e32 v5, vcc, v6, v1, vcc
	v_lshlrev_b64 v[0:1], 4, v[2:3]
	s_mul_i32 s2, s1, 49
	s_mul_hi_u32 s3, s0, 49
	v_add_co_u32_e32 v0, vcc, v4, v0
	s_add_i32 s3, s3, s2
	s_mul_i32 s2, s0, 49
	v_addc_co_u32_e32 v1, vcc, v5, v1, vcc
	s_lshl_b64 s[12:13], s[2:3], 4
	s_load_dwordx2 s[2:3], s[4:5], 0x38
	global_load_dwordx4 v[19:22], v[0:1], off
	v_mov_b32_e32 v4, s13
	v_add_co_u32_e32 v0, vcc, s12, v0
	v_addc_co_u32_e32 v1, vcc, v1, v4, vcc
	v_add_co_u32_e32 v2, vcc, s12, v0
	s_waitcnt lgkmcnt(0)
	global_load_dwordx4 v[12:15], v88, s[6:7]
	global_load_dwordx4 v[8:11], v88, s[6:7] offset:784
	v_addc_co_u32_e32 v3, vcc, v1, v4, vcc
	global_load_dwordx4 v[23:26], v[0:1], off
	global_load_dwordx4 v[27:30], v[2:3], off
	v_add_co_u32_e32 v16, vcc, s12, v2
	v_addc_co_u32_e32 v17, vcc, v3, v4, vcc
	global_load_dwordx4 v[0:3], v88, s[6:7] offset:1568
	global_load_dwordx4 v[4:7], v88, s[6:7] offset:2352
	global_load_dwordx4 v[31:34], v[16:17], off
	v_cmp_eq_u32_e32 vcc, 1, v18
	v_cndmask_b32_e32 v48, 0, v35, vcc
	s_load_dwordx4 s[8:11], s[10:11], 0x0
	v_mov_b32_e32 v47, s7
	v_add_co_u32_e32 v96, vcc, s6, v88
	v_addc_co_u32_e32 v97, vcc, 0, v47, vcc
	v_add_u32_e32 v99, v48, v88
	v_cmp_gt_u16_e32 vcc, 21, v100
	s_waitcnt vmcnt(6)
	v_mul_f64 v[35:36], v[21:22], v[14:15]
	v_mul_f64 v[37:38], v[19:20], v[14:15]
	s_waitcnt vmcnt(4)
	v_mul_f64 v[39:40], v[25:26], v[10:11]
	v_mul_f64 v[41:42], v[23:24], v[10:11]
	;; [unrolled: 3-line block ×4, first 2 shown]
	v_fma_f64 v[18:19], v[19:20], v[12:13], v[35:36]
	v_fma_f64 v[20:21], v[21:22], v[12:13], -v[37:38]
	v_fma_f64 v[22:23], v[23:24], v[8:9], v[39:40]
	v_fma_f64 v[24:25], v[25:26], v[8:9], -v[41:42]
	;; [unrolled: 2-line block ×4, first 2 shown]
	ds_write_b128 v99, v[18:21]
	ds_write_b128 v99, v[22:25] offset:784
	ds_write_b128 v99, v[26:29] offset:1568
	;; [unrolled: 1-line block ×3, first 2 shown]
	s_and_saveexec_b64 s[14:15], vcc
	s_cbranch_execz .LBB0_3
; %bb.2:
	v_mov_b32_e32 v18, 0xfffff890
	v_mad_u64_u32 v[20:21], s[16:17], s0, v18, v[16:17]
	s_mulk_i32 s1, 0xf890
	s_sub_i32 s0, s1, s0
	v_add_u32_e32 v21, s0, v21
	v_mov_b32_e32 v38, s13
	v_add_co_u32_e64 v32, s[0:1], s12, v20
	v_addc_co_u32_e64 v33, s[0:1], v21, v38, s[0:1]
	global_load_dwordx4 v[16:19], v[20:21], off
	v_add_co_u32_e64 v36, s[0:1], s12, v32
	global_load_dwordx4 v[20:23], v[32:33], off
	global_load_dwordx4 v[24:27], v[96:97], off offset:448
	global_load_dwordx4 v[28:31], v[96:97], off offset:1232
	v_addc_co_u32_e64 v37, s[0:1], v33, v38, s[0:1]
	global_load_dwordx4 v[32:35], v[36:37], off
	v_add_co_u32_e64 v49, s[0:1], s12, v36
	v_addc_co_u32_e64 v50, s[0:1], v37, v38, s[0:1]
	global_load_dwordx4 v[36:39], v[96:97], off offset:2016
	global_load_dwordx4 v[40:43], v[96:97], off offset:2800
	global_load_dwordx4 v[44:47], v[49:50], off
	s_waitcnt vmcnt(5)
	v_mul_f64 v[49:50], v[18:19], v[26:27]
	v_mul_f64 v[26:27], v[16:17], v[26:27]
	s_waitcnt vmcnt(4)
	v_mul_f64 v[51:52], v[22:23], v[30:31]
	v_mul_f64 v[30:31], v[20:21], v[30:31]
	;; [unrolled: 3-line block ×4, first 2 shown]
	v_fma_f64 v[16:17], v[16:17], v[24:25], v[49:50]
	v_fma_f64 v[18:19], v[18:19], v[24:25], -v[26:27]
	v_fma_f64 v[20:21], v[20:21], v[28:29], v[51:52]
	v_fma_f64 v[22:23], v[22:23], v[28:29], -v[30:31]
	;; [unrolled: 2-line block ×4, first 2 shown]
	ds_write_b128 v99, v[16:19] offset:448
	ds_write_b128 v99, v[20:23] offset:1232
	;; [unrolled: 1-line block ×4, first 2 shown]
.LBB0_3:
	s_or_b64 exec, exec, s[14:15]
	s_waitcnt lgkmcnt(0)
	; wave barrier
	s_waitcnt lgkmcnt(0)
	ds_read_b128 v[28:31], v99
	ds_read_b128 v[24:27], v99 offset:784
	ds_read_b128 v[44:47], v99 offset:1568
	;; [unrolled: 1-line block ×3, first 2 shown]
	s_load_dwordx2 s[14:15], s[4:5], 0x8
                                        ; implicit-def: $vgpr16_vgpr17
                                        ; implicit-def: $vgpr36_vgpr37
                                        ; implicit-def: $vgpr32_vgpr33
                                        ; implicit-def: $vgpr20_vgpr21
	s_and_saveexec_b64 s[0:1], vcc
	s_cbranch_execz .LBB0_5
; %bb.4:
	ds_read_b128 v[16:19], v99 offset:448
	ds_read_b128 v[20:23], v99 offset:1232
	;; [unrolled: 1-line block ×4, first 2 shown]
.LBB0_5:
	s_or_b64 exec, exec, s[0:1]
	s_waitcnt lgkmcnt(0)
	v_add_f64 v[49:50], v[28:29], -v[44:45]
	v_add_f64 v[51:52], v[30:31], -v[46:47]
	v_add_f64 v[44:45], v[24:25], -v[40:41]
	v_add_f64 v[40:41], v[26:27], -v[42:43]
	v_add_co_u32_e64 v57, s[0:1], 28, v100
	v_lshl_add_u32 v101, v57, 6, v48
	v_fma_f64 v[53:54], v[28:29], 2.0, -v[49:50]
	v_fma_f64 v[55:56], v[30:31], 2.0, -v[51:52]
	;; [unrolled: 1-line block ×4, first 2 shown]
	v_add_f64 v[28:29], v[16:17], -v[32:33]
	v_add_f64 v[30:31], v[18:19], -v[34:35]
	;; [unrolled: 1-line block ×5, first 2 shown]
	v_add_f64 v[42:43], v[51:52], v[44:45]
	v_add_f64 v[44:45], v[53:54], -v[24:25]
	v_add_f64 v[46:47], v[55:56], -v[26:27]
	; wave barrier
	v_add_f64 v[24:25], v[28:29], -v[34:35]
	v_add_f64 v[26:27], v[30:31], v[32:33]
	v_fma_f64 v[36:37], v[49:50], 2.0, -v[40:41]
	v_fma_f64 v[38:39], v[51:52], 2.0, -v[42:43]
	;; [unrolled: 1-line block ×4, first 2 shown]
	v_lshlrev_b16_e32 v53, 2, v100
	v_lshl_add_u32 v102, v53, 4, v48
	ds_write_b128 v102, v[40:43] offset:48
	ds_write_b128 v102, v[36:39] offset:16
	;; [unrolled: 1-line block ×3, first 2 shown]
	ds_write_b128 v102, v[49:52]
	s_and_saveexec_b64 s[0:1], vcc
	s_cbranch_execz .LBB0_7
; %bb.6:
	v_fma_f64 v[36:37], v[18:19], 2.0, -v[30:31]
	v_fma_f64 v[18:19], v[22:23], 2.0, -v[34:35]
	;; [unrolled: 1-line block ×6, first 2 shown]
	v_add_f64 v[18:19], v[36:37], -v[18:19]
	v_add_f64 v[16:17], v[34:35], -v[16:17]
	v_fma_f64 v[30:31], v[36:37], 2.0, -v[18:19]
	v_fma_f64 v[28:29], v[34:35], 2.0, -v[16:17]
	ds_write_b128 v101, v[20:23] offset:16
	ds_write_b128 v101, v[16:19] offset:32
	ds_write_b128 v101, v[28:31]
	ds_write_b128 v101, v[24:27] offset:48
.LBB0_7:
	s_or_b64 exec, exec, s[0:1]
	v_and_b32_e32 v44, 3, v100
	v_mul_u32_u24_e32 v16, 6, v44
	v_lshlrev_b32_e32 v47, 4, v16
	s_waitcnt lgkmcnt(0)
	; wave barrier
	s_waitcnt lgkmcnt(0)
	ds_read_b128 v[49:52], v99
	ds_read_b128 v[36:39], v99 offset:448
	ds_read_b128 v[40:43], v99 offset:896
	;; [unrolled: 1-line block ×6, first 2 shown]
	global_load_dwordx4 v[16:19], v47, s[14:15] offset:48
	global_load_dwordx4 v[20:23], v47, s[14:15] offset:32
	;; [unrolled: 1-line block ×3, first 2 shown]
	global_load_dwordx4 v[32:35], v47, s[14:15]
	s_add_u32 s4, s6, 0xc40
	s_addc_u32 s5, s7, 0
	s_mov_b32 s18, 0x37e14327
	s_mov_b32 s6, 0x36b3c0b5
	;; [unrolled: 1-line block ×20, first 2 shown]
	s_movk_i32 s30, 0x60
	s_waitcnt vmcnt(0) lgkmcnt(5)
	v_mul_f64 v[45:46], v[38:39], v[34:35]
	v_fma_f64 v[45:46], v[36:37], v[32:33], -v[45:46]
	v_mul_f64 v[36:37], v[36:37], v[34:35]
	v_fma_f64 v[69:70], v[38:39], v[32:33], v[36:37]
	s_waitcnt lgkmcnt(4)
	v_mul_f64 v[36:37], v[42:43], v[30:31]
	v_fma_f64 v[71:72], v[40:41], v[28:29], -v[36:37]
	v_mul_f64 v[36:37], v[40:41], v[30:31]
	v_fma_f64 v[73:74], v[42:43], v[28:29], v[36:37]
	s_waitcnt lgkmcnt(3)
	;; [unrolled: 5-line block ×3, first 2 shown]
	v_mul_f64 v[36:37], v[59:60], v[18:19]
	v_fma_f64 v[55:56], v[57:58], v[16:17], -v[36:37]
	v_mul_f64 v[36:37], v[57:58], v[18:19]
	v_fma_f64 v[57:58], v[59:60], v[16:17], v[36:37]
	global_load_dwordx4 v[36:39], v47, s[14:15] offset:80
	global_load_dwordx4 v[40:43], v47, s[14:15] offset:64
	s_waitcnt lgkmcnt(0)
	; wave barrier
	s_waitcnt vmcnt(0) lgkmcnt(0)
	v_mul_f64 v[59:60], v[63:64], v[42:43]
	v_fma_f64 v[59:60], v[61:62], v[40:41], -v[59:60]
	v_mul_f64 v[61:62], v[61:62], v[42:43]
	v_fma_f64 v[61:62], v[63:64], v[40:41], v[61:62]
	v_mul_f64 v[63:64], v[67:68], v[38:39]
	v_fma_f64 v[63:64], v[65:66], v[36:37], -v[63:64]
	v_mul_f64 v[65:66], v[65:66], v[38:39]
	v_fma_f64 v[65:66], v[67:68], v[36:37], v[65:66]
	v_add_f64 v[67:68], v[45:46], v[63:64]
	v_add_f64 v[45:46], v[45:46], -v[63:64]
	v_add_f64 v[77:78], v[69:70], v[65:66]
	v_add_f64 v[63:64], v[69:70], -v[65:66]
	v_add_f64 v[65:66], v[71:72], v[59:60]
	v_add_f64 v[69:70], v[73:74], v[61:62]
	v_add_f64 v[59:60], v[71:72], -v[59:60]
	v_add_f64 v[61:62], v[73:74], -v[61:62]
	v_add_f64 v[71:72], v[75:76], v[55:56]
	v_add_f64 v[73:74], v[53:54], v[57:58]
	v_add_f64 v[55:56], v[55:56], -v[75:76]
	;; [unrolled: 4-line block ×3, first 2 shown]
	v_add_f64 v[81:82], v[69:70], -v[77:78]
	v_add_f64 v[67:68], v[67:68], -v[71:72]
	;; [unrolled: 1-line block ×5, first 2 shown]
	v_add_f64 v[83:84], v[55:56], v[59:60]
	v_add_f64 v[89:90], v[55:56], -v[59:60]
	v_add_f64 v[59:60], v[59:60], -v[45:46]
	v_add_f64 v[57:58], v[71:72], v[57:58]
	v_add_f64 v[71:72], v[73:74], v[75:76]
	;; [unrolled: 1-line block ×3, first 2 shown]
	v_add_f64 v[91:92], v[53:54], -v[61:62]
	v_add_f64 v[61:62], v[61:62], -v[63:64]
	;; [unrolled: 1-line block ×3, first 2 shown]
	v_add_f64 v[45:46], v[83:84], v[45:46]
	v_mul_f64 v[67:68], v[67:68], s[18:19]
	v_add_f64 v[49:50], v[49:50], v[57:58]
	v_add_f64 v[51:52], v[51:52], v[71:72]
	v_mul_f64 v[73:74], v[77:78], s[18:19]
	v_mul_f64 v[75:76], v[65:66], s[6:7]
	;; [unrolled: 1-line block ×5, first 2 shown]
	v_add_f64 v[53:54], v[63:64], -v[53:54]
	v_add_f64 v[63:64], v[85:86], v[63:64]
	v_mul_f64 v[85:86], v[91:92], s[12:13]
	v_mul_f64 v[91:92], v[61:62], s[0:1]
	v_fma_f64 v[57:58], v[57:58], s[20:21], v[49:50]
	v_fma_f64 v[71:72], v[71:72], s[20:21], v[51:52]
	;; [unrolled: 1-line block ×4, first 2 shown]
	v_fma_f64 v[75:76], v[79:80], s[16:17], -v[75:76]
	v_fma_f64 v[77:78], v[81:82], s[16:17], -v[77:78]
	;; [unrolled: 1-line block ×4, first 2 shown]
	v_fma_f64 v[79:80], v[55:56], s[26:27], v[83:84]
	v_fma_f64 v[59:60], v[59:60], s[0:1], -v[83:84]
	v_fma_f64 v[55:56], v[55:56], s[28:29], -v[89:90]
	v_fma_f64 v[81:82], v[53:54], s[26:27], v[85:86]
	v_fma_f64 v[53:54], v[53:54], s[28:29], -v[91:92]
	v_fma_f64 v[61:62], v[61:62], s[0:1], -v[85:86]
	v_add_f64 v[83:84], v[65:66], v[57:58]
	v_add_f64 v[85:86], v[69:70], v[71:72]
	;; [unrolled: 1-line block ×6, first 2 shown]
	v_fma_f64 v[77:78], v[45:46], s[24:25], v[79:80]
	v_fma_f64 v[67:68], v[45:46], s[24:25], v[59:60]
	;; [unrolled: 1-line block ×6, first 2 shown]
	v_add_f64 v[55:56], v[85:86], -v[77:78]
	v_add_f64 v[63:64], v[67:68], v[69:70]
	v_add_f64 v[59:60], v[71:72], -v[45:46]
	v_add_f64 v[71:72], v[45:46], v[71:72]
	v_lshrrev_b32_e32 v45, 2, v100
	v_mul_u32_u24_e32 v45, 28, v45
	v_add_f64 v[53:54], v[73:74], v[83:84]
	v_or_b32_e32 v44, v45, v44
	v_add_f64 v[57:58], v[81:82], v[75:76]
	v_lshl_add_u32 v103, v44, 4, v48
	v_mov_b32_e32 v45, s15
	v_add_f64 v[61:62], v[65:66], -v[79:80]
	v_mov_b32_e32 v44, s14
	v_add_f64 v[65:66], v[79:80], v[65:66]
	v_add_f64 v[67:68], v[69:70], -v[67:68]
	v_mad_u64_u32 v[89:90], s[14:15], v100, s30, v[44:45]
	v_add_f64 v[69:70], v[75:76], -v[81:82]
	v_add_f64 v[73:74], v[83:84], -v[73:74]
	v_add_f64 v[75:76], v[77:78], v[85:86]
	ds_write_b128 v103, v[49:52]
	ds_write_b128 v103, v[53:56] offset:64
	ds_write_b128 v103, v[57:60] offset:128
	;; [unrolled: 1-line block ×6, first 2 shown]
	s_waitcnt lgkmcnt(0)
	; wave barrier
	s_waitcnt lgkmcnt(0)
	ds_read_b128 v[68:71], v99
	ds_read_b128 v[84:87], v99 offset:448
	ds_read_b128 v[80:83], v99 offset:896
	;; [unrolled: 1-line block ×6, first 2 shown]
	global_load_dwordx4 v[44:47], v[89:90], off offset:432
	global_load_dwordx4 v[48:51], v[89:90], off offset:416
	;; [unrolled: 1-line block ×4, first 2 shown]
	s_waitcnt vmcnt(0) lgkmcnt(5)
	v_mul_f64 v[91:92], v[86:87], v[58:59]
	v_fma_f64 v[91:92], v[84:85], v[56:57], -v[91:92]
	v_mul_f64 v[84:85], v[84:85], v[58:59]
	v_fma_f64 v[84:85], v[86:87], v[56:57], v[84:85]
	s_waitcnt lgkmcnt(4)
	v_mul_f64 v[86:87], v[82:83], v[54:55]
	v_fma_f64 v[86:87], v[80:81], v[52:53], -v[86:87]
	v_mul_f64 v[80:81], v[80:81], v[54:55]
	v_fma_f64 v[80:81], v[82:83], v[52:53], v[80:81]
	s_waitcnt lgkmcnt(3)
	;; [unrolled: 5-line block ×3, first 2 shown]
	v_mul_f64 v[64:65], v[62:63], v[46:47]
	v_fma_f64 v[104:105], v[60:61], v[44:45], -v[64:65]
	v_mul_f64 v[60:61], v[60:61], v[46:47]
	v_fma_f64 v[106:107], v[62:63], v[44:45], v[60:61]
	global_load_dwordx4 v[60:63], v[89:90], off offset:464
	global_load_dwordx4 v[64:67], v[89:90], off offset:448
	s_waitcnt vmcnt(0) lgkmcnt(1)
	v_mul_f64 v[89:90], v[78:79], v[66:67]
	v_fma_f64 v[89:90], v[76:77], v[64:65], -v[89:90]
	v_mul_f64 v[76:77], v[76:77], v[66:67]
	v_fma_f64 v[76:77], v[78:79], v[64:65], v[76:77]
	s_waitcnt lgkmcnt(0)
	v_mul_f64 v[78:79], v[74:75], v[62:63]
	v_fma_f64 v[78:79], v[72:73], v[60:61], -v[78:79]
	v_mul_f64 v[72:73], v[72:73], v[62:63]
	v_fma_f64 v[72:73], v[74:75], v[60:61], v[72:73]
	v_add_f64 v[74:75], v[91:92], v[78:79]
	v_add_f64 v[78:79], v[91:92], -v[78:79]
	v_add_f64 v[91:92], v[80:81], v[76:77]
	v_add_f64 v[76:77], v[80:81], -v[76:77]
	;; [unrolled: 2-line block ×6, first 2 shown]
	v_add_f64 v[122:123], v[78:79], -v[82:83]
	v_add_f64 v[106:107], v[91:92], v[108:109]
	v_add_f64 v[112:113], v[91:92], -v[108:109]
	v_add_f64 v[104:105], v[84:85], v[74:75]
	v_add_f64 v[110:111], v[84:85], -v[74:75]
	v_add_f64 v[74:75], v[74:75], -v[80:81]
	;; [unrolled: 1-line block ×5, first 2 shown]
	v_add_f64 v[114:115], v[82:83], v[86:87]
	v_add_f64 v[118:119], v[82:83], -v[86:87]
	v_add_f64 v[120:121], v[93:94], -v[76:77]
	v_add_f64 v[104:105], v[80:81], v[104:105]
	v_add_f64 v[89:90], v[89:90], v[106:107]
	;; [unrolled: 1-line block ×3, first 2 shown]
	v_add_f64 v[86:87], v[86:87], -v[78:79]
	v_add_f64 v[76:77], v[76:77], -v[72:73]
	;; [unrolled: 1-line block ×3, first 2 shown]
	v_add_f64 v[78:79], v[114:115], v[78:79]
	v_mul_f64 v[106:107], v[91:92], s[6:7]
	v_add_f64 v[80:81], v[68:69], v[104:105]
	v_add_f64 v[82:83], v[70:71], v[89:90]
	v_mul_f64 v[68:69], v[74:75], s[18:19]
	v_mul_f64 v[70:71], v[108:109], s[18:19]
	;; [unrolled: 1-line block ×5, first 2 shown]
	v_add_f64 v[72:73], v[116:117], v[72:73]
	v_mul_f64 v[116:117], v[86:87], s[0:1]
	v_mul_f64 v[118:119], v[76:77], s[0:1]
	v_fma_f64 v[104:105], v[104:105], s[20:21], v[80:81]
	v_fma_f64 v[89:90], v[89:90], s[20:21], v[82:83]
	;; [unrolled: 1-line block ×4, first 2 shown]
	v_fma_f64 v[74:75], v[110:111], s[16:17], -v[74:75]
	v_fma_f64 v[106:107], v[112:113], s[16:17], -v[106:107]
	;; [unrolled: 1-line block ×4, first 2 shown]
	v_fma_f64 v[110:111], v[122:123], s[26:27], v[108:109]
	v_fma_f64 v[112:113], v[93:94], s[26:27], v[114:115]
	v_fma_f64 v[86:87], v[86:87], s[0:1], -v[108:109]
	v_fma_f64 v[76:77], v[76:77], s[0:1], -v[114:115]
	;; [unrolled: 1-line block ×4, first 2 shown]
	v_add_f64 v[114:115], v[84:85], v[104:105]
	v_add_f64 v[116:117], v[91:92], v[89:90]
	v_fma_f64 v[110:111], v[78:79], s[24:25], v[110:111]
	v_fma_f64 v[112:113], v[72:73], s[24:25], v[112:113]
	v_add_f64 v[120:121], v[68:69], v[104:105]
	v_add_f64 v[122:123], v[70:71], v[89:90]
	v_fma_f64 v[68:69], v[72:73], s[24:25], v[76:77]
	v_fma_f64 v[76:77], v[78:79], s[24:25], v[108:109]
	;; [unrolled: 1-line block ×3, first 2 shown]
	v_add_f64 v[74:75], v[74:75], v[104:105]
	v_add_f64 v[118:119], v[106:107], v[89:90]
	v_fma_f64 v[70:71], v[78:79], s[24:25], v[86:87]
	v_add_f64 v[84:85], v[112:113], v[114:115]
	v_add_f64 v[86:87], v[116:117], -v[110:111]
	v_add_f64 v[78:79], v[110:111], v[116:117]
	v_add_f64 v[91:92], v[122:123], -v[76:77]
	v_add_f64 v[89:90], v[72:73], v[120:121]
	v_add_f64 v[104:105], v[74:75], -v[68:69]
	v_add_f64 v[68:69], v[68:69], v[74:75]
	v_add_f64 v[106:107], v[70:71], v[118:119]
	v_add_f64 v[70:71], v[118:119], -v[70:71]
	v_add_f64 v[72:73], v[120:121], -v[72:73]
	v_add_f64 v[74:75], v[76:77], v[122:123]
	v_add_f64 v[76:77], v[114:115], -v[112:113]
	ds_write_b128 v99, v[80:83]
	ds_write_b128 v99, v[84:87] offset:448
	ds_write_b128 v99, v[89:92] offset:896
	;; [unrolled: 1-line block ×6, first 2 shown]
	s_waitcnt lgkmcnt(0)
	; wave barrier
	s_waitcnt lgkmcnt(0)
	global_load_dwordx4 v[84:87], v[96:97], off offset:3136
	ds_read_b128 v[80:83], v99
	s_waitcnt vmcnt(0) lgkmcnt(0)
	v_mul_f64 v[89:90], v[82:83], v[86:87]
	v_fma_f64 v[89:90], v[80:81], v[84:85], -v[89:90]
	v_mul_f64 v[80:81], v[80:81], v[86:87]
	v_fma_f64 v[91:92], v[82:83], v[84:85], v[80:81]
	global_load_dwordx4 v[84:87], v88, s[4:5] offset:784
	ds_read_b128 v[80:83], v99 offset:784
	ds_write_b128 v99, v[89:92]
	s_waitcnt vmcnt(0) lgkmcnt(1)
	v_mul_f64 v[89:90], v[82:83], v[86:87]
	v_fma_f64 v[89:90], v[80:81], v[84:85], -v[89:90]
	v_mul_f64 v[80:81], v[80:81], v[86:87]
	v_fma_f64 v[91:92], v[82:83], v[84:85], v[80:81]
	global_load_dwordx4 v[84:87], v88, s[4:5] offset:1568
	ds_read_b128 v[80:83], v99 offset:1568
	ds_write_b128 v99, v[89:92] offset:784
	s_waitcnt vmcnt(0) lgkmcnt(1)
	v_mul_f64 v[89:90], v[82:83], v[86:87]
	v_fma_f64 v[89:90], v[80:81], v[84:85], -v[89:90]
	v_mul_f64 v[80:81], v[80:81], v[86:87]
	v_fma_f64 v[91:92], v[82:83], v[84:85], v[80:81]
	global_load_dwordx4 v[84:87], v88, s[4:5] offset:2352
	ds_read_b128 v[80:83], v99 offset:2352
	ds_write_b128 v99, v[89:92] offset:1568
	s_waitcnt vmcnt(0) lgkmcnt(1)
	v_mul_f64 v[89:90], v[82:83], v[86:87]
	v_fma_f64 v[89:90], v[80:81], v[84:85], -v[89:90]
	v_mul_f64 v[80:81], v[80:81], v[86:87]
	v_fma_f64 v[91:92], v[82:83], v[84:85], v[80:81]
	ds_write_b128 v99, v[89:92] offset:2352
	s_and_saveexec_b64 s[6:7], vcc
	s_cbranch_execz .LBB0_9
; %bb.8:
	v_add_co_u32_e64 v92, s[0:1], s4, v88
	v_mov_b32_e32 v80, s5
	v_addc_co_u32_e64 v93, s[0:1], 0, v80, s[0:1]
	global_load_dwordx4 v[84:87], v[92:93], off offset:448
	ds_read_b128 v[80:83], v99 offset:448
	s_waitcnt vmcnt(0) lgkmcnt(0)
	v_mul_f64 v[88:89], v[82:83], v[86:87]
	v_fma_f64 v[88:89], v[80:81], v[84:85], -v[88:89]
	v_mul_f64 v[80:81], v[80:81], v[86:87]
	v_fma_f64 v[90:91], v[82:83], v[84:85], v[80:81]
	global_load_dwordx4 v[84:87], v[92:93], off offset:1232
	ds_read_b128 v[80:83], v99 offset:1232
	ds_write_b128 v99, v[88:91] offset:448
	s_waitcnt vmcnt(0) lgkmcnt(1)
	v_mul_f64 v[88:89], v[82:83], v[86:87]
	v_fma_f64 v[88:89], v[80:81], v[84:85], -v[88:89]
	v_mul_f64 v[80:81], v[80:81], v[86:87]
	v_fma_f64 v[90:91], v[82:83], v[84:85], v[80:81]
	global_load_dwordx4 v[84:87], v[92:93], off offset:2016
	ds_read_b128 v[80:83], v99 offset:2016
	ds_write_b128 v99, v[88:91] offset:1232
	;; [unrolled: 8-line block ×3, first 2 shown]
	s_waitcnt vmcnt(0) lgkmcnt(1)
	v_mul_f64 v[88:89], v[82:83], v[86:87]
	v_fma_f64 v[88:89], v[80:81], v[84:85], -v[88:89]
	v_mul_f64 v[80:81], v[80:81], v[86:87]
	v_fma_f64 v[90:91], v[82:83], v[84:85], v[80:81]
	ds_write_b128 v99, v[88:91] offset:2800
.LBB0_9:
	s_or_b64 exec, exec, s[6:7]
	s_waitcnt lgkmcnt(0)
	; wave barrier
	s_waitcnt lgkmcnt(0)
	ds_read_b128 v[84:87], v99
	ds_read_b128 v[80:83], v99 offset:784
	ds_read_b128 v[92:95], v99 offset:1568
	;; [unrolled: 1-line block ×3, first 2 shown]
	s_and_saveexec_b64 s[0:1], vcc
	s_cbranch_execz .LBB0_11
; %bb.10:
	ds_read_b128 v[68:71], v99 offset:448
	ds_read_b128 v[72:75], v99 offset:1232
	;; [unrolled: 1-line block ×4, first 2 shown]
.LBB0_11:
	s_or_b64 exec, exec, s[0:1]
	s_waitcnt lgkmcnt(1)
	v_add_f64 v[92:93], v[84:85], -v[92:93]
	v_add_f64 v[94:95], v[86:87], -v[94:95]
	s_waitcnt lgkmcnt(0)
	v_add_f64 v[88:89], v[80:81], -v[88:89]
	v_add_f64 v[90:91], v[82:83], -v[90:91]
	s_waitcnt lgkmcnt(0)
	; wave barrier
	v_fma_f64 v[104:105], v[84:85], 2.0, -v[92:93]
	v_fma_f64 v[106:107], v[86:87], 2.0, -v[94:95]
	;; [unrolled: 1-line block ×4, first 2 shown]
	v_add_f64 v[80:81], v[92:93], v[90:91]
	v_add_f64 v[82:83], v[94:95], -v[88:89]
	v_add_f64 v[84:85], v[104:105], -v[84:85]
	;; [unrolled: 1-line block ×3, first 2 shown]
	v_fma_f64 v[88:89], v[92:93], 2.0, -v[80:81]
	v_fma_f64 v[90:91], v[94:95], 2.0, -v[82:83]
	;; [unrolled: 1-line block ×4, first 2 shown]
	ds_write_b128 v102, v[88:91] offset:16
	ds_write_b128 v102, v[84:87] offset:32
	ds_write_b128 v102, v[92:95]
	ds_write_b128 v102, v[80:83] offset:48
	s_and_saveexec_b64 s[0:1], vcc
	s_cbranch_execz .LBB0_13
; %bb.12:
	v_add_f64 v[78:79], v[70:71], -v[78:79]
	v_add_f64 v[80:81], v[74:75], -v[26:27]
	;; [unrolled: 1-line block ×4, first 2 shown]
	v_fma_f64 v[82:83], v[70:71], 2.0, -v[78:79]
	v_fma_f64 v[70:71], v[74:75], 2.0, -v[80:81]
	;; [unrolled: 1-line block ×4, first 2 shown]
	v_add_f64 v[26:27], v[78:79], -v[24:25]
	v_add_f64 v[24:25], v[76:77], v[80:81]
	v_add_f64 v[70:71], v[82:83], -v[70:71]
	v_add_f64 v[68:69], v[84:85], -v[68:69]
	v_fma_f64 v[74:75], v[78:79], 2.0, -v[26:27]
	v_fma_f64 v[72:73], v[76:77], 2.0, -v[24:25]
	;; [unrolled: 1-line block ×4, first 2 shown]
	ds_write_b128 v101, v[72:75] offset:16
	ds_write_b128 v101, v[68:71] offset:32
	ds_write_b128 v101, v[76:79]
	ds_write_b128 v101, v[24:27] offset:48
.LBB0_13:
	s_or_b64 exec, exec, s[0:1]
	s_waitcnt lgkmcnt(0)
	; wave barrier
	s_waitcnt lgkmcnt(0)
	ds_read_b128 v[24:27], v99 offset:448
	ds_read_b128 v[68:71], v99 offset:896
	;; [unrolled: 1-line block ×3, first 2 shown]
	ds_read_b128 v[76:79], v99
	ds_read_b128 v[80:83], v99 offset:1792
	ds_read_b128 v[84:87], v99 offset:2240
	;; [unrolled: 1-line block ×3, first 2 shown]
	s_mov_b32 s4, 0x37e14327
	s_waitcnt lgkmcnt(6)
	v_mul_f64 v[92:93], v[34:35], v[26:27]
	v_mul_f64 v[34:35], v[34:35], v[24:25]
	s_waitcnt lgkmcnt(5)
	v_mul_f64 v[94:95], v[30:31], v[70:71]
	v_mul_f64 v[30:31], v[30:31], v[68:69]
	s_mov_b32 s0, 0x36b3c0b5
	s_mov_b32 s12, 0xe976ee23
	;; [unrolled: 1-line block ×4, first 2 shown]
	v_fma_f64 v[24:25], v[32:33], v[24:25], v[92:93]
	v_fma_f64 v[26:27], v[32:33], v[26:27], -v[34:35]
	v_fma_f64 v[32:33], v[28:29], v[68:69], v[94:95]
	v_fma_f64 v[28:29], v[28:29], v[70:71], -v[30:31]
	s_waitcnt lgkmcnt(0)
	v_mul_f64 v[30:31], v[38:39], v[90:91]
	v_mul_f64 v[34:35], v[38:39], v[88:89]
	;; [unrolled: 1-line block ×8, first 2 shown]
	v_fma_f64 v[30:31], v[36:37], v[88:89], v[30:31]
	v_fma_f64 v[34:35], v[36:37], v[90:91], -v[34:35]
	v_fma_f64 v[36:37], v[20:21], v[72:73], v[38:39]
	v_fma_f64 v[20:21], v[20:21], v[74:75], -v[22:23]
	;; [unrolled: 2-line block ×4, first 2 shown]
	v_add_f64 v[18:19], v[24:25], v[30:31]
	v_add_f64 v[42:43], v[26:27], v[34:35]
	v_add_f64 v[24:25], v[24:25], -v[30:31]
	v_add_f64 v[26:27], v[26:27], -v[34:35]
	v_add_f64 v[30:31], v[32:33], v[22:23]
	v_add_f64 v[34:35], v[28:29], v[38:39]
	v_add_f64 v[22:23], v[32:33], -v[22:23]
	v_add_f64 v[28:29], v[28:29], -v[38:39]
	v_add_f64 v[32:33], v[36:37], v[40:41]
	v_add_f64 v[38:39], v[20:21], v[16:17]
	v_add_f64 v[36:37], v[40:41], -v[36:37]
	v_add_f64 v[16:17], v[16:17], -v[20:21]
	v_add_f64 v[20:21], v[30:31], v[18:19]
	v_add_f64 v[40:41], v[34:35], v[42:43]
	v_add_f64 v[68:69], v[30:31], -v[18:19]
	v_add_f64 v[70:71], v[34:35], -v[42:43]
	v_add_f64 v[72:73], v[18:19], -v[32:33]
	v_add_f64 v[42:43], v[42:43], -v[38:39]
	;; [unrolled: 1-line block ×4, first 2 shown]
	v_add_f64 v[18:19], v[36:37], v[22:23]
	v_add_f64 v[74:75], v[16:17], v[28:29]
	v_add_f64 v[80:81], v[36:37], -v[22:23]
	v_add_f64 v[82:83], v[16:17], -v[28:29]
	v_add_f64 v[20:21], v[32:33], v[20:21]
	v_add_f64 v[32:33], v[38:39], v[40:41]
	v_add_f64 v[22:23], v[22:23], -v[24:25]
	v_add_f64 v[28:29], v[28:29], -v[26:27]
	s_mov_b32 s13, 0x3fe11646
	s_mov_b32 s6, 0x429ad128
	v_add_f64 v[36:37], v[24:25], -v[36:37]
	v_add_f64 v[38:39], v[26:27], -v[16:17]
	v_add_f64 v[24:25], v[18:19], v[24:25]
	v_add_f64 v[26:27], v[74:75], v[26:27]
	;; [unrolled: 1-line block ×4, first 2 shown]
	v_mul_f64 v[40:41], v[72:73], s[4:5]
	v_mul_f64 v[42:43], v[42:43], s[4:5]
	;; [unrolled: 1-line block ×6, first 2 shown]
	s_mov_b32 s7, 0xbfebfeb5
	v_mul_f64 v[80:81], v[22:23], s[6:7]
	v_mul_f64 v[82:83], v[28:29], s[6:7]
	s_mov_b32 s14, 0xaaaaaaaa
	s_mov_b32 s20, 0xb247c609
	;; [unrolled: 1-line block ×6, first 2 shown]
	v_fma_f64 v[20:21], v[20:21], s[14:15], v[16:17]
	v_fma_f64 v[32:33], v[32:33], s[14:15], v[18:19]
	;; [unrolled: 1-line block ×4, first 2 shown]
	v_fma_f64 v[72:73], v[68:69], s[16:17], -v[72:73]
	v_fma_f64 v[74:75], v[70:71], s[16:17], -v[74:75]
	v_fma_f64 v[40:41], v[68:69], s[18:19], -v[40:41]
	v_fma_f64 v[42:43], v[70:71], s[18:19], -v[42:43]
	v_fma_f64 v[68:69], v[36:37], s[20:21], v[76:77]
	v_fma_f64 v[70:71], v[38:39], s[20:21], v[78:79]
	s_mov_b32 s25, 0x3fd5d0dc
	s_mov_b32 s24, s20
	v_fma_f64 v[36:37], v[36:37], s[24:25], -v[80:81]
	v_fma_f64 v[38:39], v[38:39], s[24:25], -v[82:83]
	;; [unrolled: 1-line block ×4, first 2 shown]
	s_mov_b32 s22, 0x37c3f68c
	s_mov_b32 s23, 0xbfdc38aa
	v_add_f64 v[76:77], v[30:31], v[20:21]
	v_add_f64 v[78:79], v[34:35], v[32:33]
	v_fma_f64 v[70:71], v[26:27], s[22:23], v[70:71]
	v_fma_f64 v[68:69], v[24:25], s[22:23], v[68:69]
	v_add_f64 v[34:35], v[72:73], v[20:21]
	v_add_f64 v[72:73], v[74:75], v[32:33]
	;; [unrolled: 1-line block ×4, first 2 shown]
	v_fma_f64 v[38:39], v[26:27], s[22:23], v[38:39]
	v_fma_f64 v[74:75], v[24:25], s[22:23], v[36:37]
	;; [unrolled: 1-line block ×4, first 2 shown]
	v_add_f64 v[20:21], v[70:71], v[76:77]
	v_add_f64 v[22:23], v[78:79], -v[68:69]
	s_waitcnt lgkmcnt(0)
	; wave barrier
	v_add_f64 v[24:25], v[38:39], v[40:41]
	v_add_f64 v[26:27], v[42:43], -v[74:75]
	v_add_f64 v[28:29], v[34:35], -v[32:33]
	v_add_f64 v[30:31], v[36:37], v[72:73]
	v_add_f64 v[32:33], v[32:33], v[34:35]
	v_add_f64 v[34:35], v[72:73], -v[36:37]
	v_add_f64 v[36:37], v[40:41], -v[38:39]
	v_add_f64 v[38:39], v[74:75], v[42:43]
	v_add_f64 v[40:41], v[76:77], -v[70:71]
	v_add_f64 v[42:43], v[68:69], v[78:79]
	ds_write_b128 v103, v[16:19]
	ds_write_b128 v103, v[20:23] offset:64
	ds_write_b128 v103, v[24:27] offset:128
	;; [unrolled: 1-line block ×6, first 2 shown]
	s_waitcnt lgkmcnt(0)
	; wave barrier
	s_waitcnt lgkmcnt(0)
	ds_read_b128 v[16:19], v99 offset:448
	ds_read_b128 v[20:23], v99 offset:896
	;; [unrolled: 1-line block ×3, first 2 shown]
	ds_read_b128 v[28:31], v99
	ds_read_b128 v[32:35], v99 offset:1792
	ds_read_b128 v[36:39], v99 offset:2240
	;; [unrolled: 1-line block ×3, first 2 shown]
	s_waitcnt lgkmcnt(6)
	v_mul_f64 v[68:69], v[58:59], v[18:19]
	v_mul_f64 v[58:59], v[58:59], v[16:17]
	s_waitcnt lgkmcnt(5)
	v_mul_f64 v[70:71], v[54:55], v[22:23]
	v_mul_f64 v[54:55], v[54:55], v[20:21]
	v_fma_f64 v[16:17], v[56:57], v[16:17], v[68:69]
	v_fma_f64 v[18:19], v[56:57], v[18:19], -v[58:59]
	v_fma_f64 v[20:21], v[52:53], v[20:21], v[70:71]
	v_fma_f64 v[22:23], v[52:53], v[22:23], -v[54:55]
	s_waitcnt lgkmcnt(0)
	v_mul_f64 v[52:53], v[62:63], v[42:43]
	v_mul_f64 v[54:55], v[62:63], v[40:41]
	;; [unrolled: 1-line block ×8, first 2 shown]
	v_fma_f64 v[40:41], v[60:61], v[40:41], v[52:53]
	v_fma_f64 v[42:43], v[60:61], v[42:43], -v[54:55]
	v_fma_f64 v[36:37], v[64:65], v[36:37], v[58:59]
	v_fma_f64 v[38:39], v[64:65], v[38:39], -v[62:63]
	;; [unrolled: 2-line block ×4, first 2 shown]
	v_add_f64 v[44:45], v[16:17], v[40:41]
	v_add_f64 v[46:47], v[18:19], v[42:43]
	v_add_f64 v[16:17], v[16:17], -v[40:41]
	v_add_f64 v[18:19], v[18:19], -v[42:43]
	v_add_f64 v[40:41], v[20:21], v[36:37]
	v_add_f64 v[42:43], v[22:23], v[38:39]
	v_add_f64 v[20:21], v[20:21], -v[36:37]
	v_add_f64 v[22:23], v[22:23], -v[38:39]
	;; [unrolled: 4-line block ×4, first 2 shown]
	v_add_f64 v[44:45], v[44:45], -v[36:37]
	v_add_f64 v[46:47], v[46:47], -v[38:39]
	;; [unrolled: 1-line block ×4, first 2 shown]
	v_add_f64 v[52:53], v[24:25], v[20:21]
	v_add_f64 v[54:55], v[26:27], v[22:23]
	v_add_f64 v[56:57], v[24:25], -v[20:21]
	v_add_f64 v[58:59], v[26:27], -v[22:23]
	v_add_f64 v[32:33], v[36:37], v[32:33]
	v_add_f64 v[34:35], v[38:39], v[34:35]
	v_add_f64 v[20:21], v[20:21], -v[16:17]
	v_add_f64 v[22:23], v[22:23], -v[18:19]
	;; [unrolled: 1-line block ×4, first 2 shown]
	v_add_f64 v[36:37], v[52:53], v[16:17]
	v_add_f64 v[38:39], v[54:55], v[18:19]
	;; [unrolled: 1-line block ×4, first 2 shown]
	v_mul_f64 v[28:29], v[44:45], s[4:5]
	v_mul_f64 v[30:31], v[46:47], s[4:5]
	;; [unrolled: 1-line block ×8, first 2 shown]
	v_fma_f64 v[32:33], v[32:33], s[14:15], v[16:17]
	v_fma_f64 v[34:35], v[34:35], s[14:15], v[18:19]
	;; [unrolled: 1-line block ×4, first 2 shown]
	v_fma_f64 v[44:45], v[48:49], s[16:17], -v[44:45]
	v_fma_f64 v[46:47], v[50:51], s[16:17], -v[46:47]
	;; [unrolled: 1-line block ×4, first 2 shown]
	v_fma_f64 v[48:49], v[24:25], s[20:21], v[52:53]
	v_fma_f64 v[50:51], v[26:27], s[20:21], v[54:55]
	v_fma_f64 v[24:25], v[24:25], s[24:25], -v[56:57]
	v_fma_f64 v[26:27], v[26:27], s[24:25], -v[58:59]
	;; [unrolled: 1-line block ×4, first 2 shown]
	v_add_f64 v[40:41], v[40:41], v[32:33]
	v_add_f64 v[42:43], v[42:43], v[34:35]
	v_fma_f64 v[48:49], v[36:37], s[22:23], v[48:49]
	v_fma_f64 v[50:51], v[38:39], s[22:23], v[50:51]
	v_add_f64 v[52:53], v[28:29], v[32:33]
	v_add_f64 v[54:55], v[30:31], v[34:35]
	v_fma_f64 v[56:57], v[38:39], s[22:23], v[26:27]
	v_fma_f64 v[58:59], v[36:37], s[22:23], v[24:25]
	v_add_f64 v[44:45], v[44:45], v[32:33]
	v_add_f64 v[46:47], v[46:47], v[34:35]
	v_fma_f64 v[32:33], v[38:39], s[22:23], v[22:23]
	v_fma_f64 v[34:35], v[36:37], s[22:23], v[20:21]
	v_add_f64 v[20:21], v[50:51], v[40:41]
	v_add_f64 v[22:23], v[42:43], -v[48:49]
	v_add_f64 v[24:25], v[56:57], v[52:53]
	v_add_f64 v[26:27], v[54:55], -v[58:59]
	v_add_f64 v[36:37], v[52:53], -v[56:57]
	v_add_f64 v[38:39], v[58:59], v[54:55]
	v_add_f64 v[28:29], v[44:45], -v[32:33]
	v_add_f64 v[30:31], v[34:35], v[46:47]
	v_add_f64 v[32:33], v[32:33], v[44:45]
	v_add_f64 v[34:35], v[46:47], -v[34:35]
	v_add_f64 v[40:41], v[40:41], -v[50:51]
	v_add_f64 v[42:43], v[48:49], v[42:43]
	ds_write_b128 v99, v[16:19]
	ds_write_b128 v99, v[20:23] offset:448
	ds_write_b128 v99, v[24:27] offset:896
	;; [unrolled: 1-line block ×6, first 2 shown]
	s_waitcnt lgkmcnt(0)
	; wave barrier
	s_waitcnt lgkmcnt(0)
	ds_read_b128 v[16:19], v99
	ds_read_b128 v[20:23], v99 offset:784
	v_mad_u64_u32 v[24:25], s[0:1], s10, v98, 0
	s_mov_b32 s4, 0xa72f0539
	s_waitcnt lgkmcnt(1)
	v_mul_f64 v[26:27], v[14:15], v[18:19]
	v_mul_f64 v[14:15], v[14:15], v[16:17]
	s_mov_b32 s5, 0x3f74e5e0
	v_fma_f64 v[16:17], v[12:13], v[16:17], v[26:27]
	v_mad_u64_u32 v[28:29], s[0:1], s11, v98, v[25:26]
	v_mad_u64_u32 v[29:30], s[0:1], s8, v100, 0
	v_fma_f64 v[14:15], v[12:13], v[18:19], -v[14:15]
	v_mov_b32_e32 v25, v28
	v_mov_b32_e32 v12, v30
	v_mad_u64_u32 v[18:19], s[0:1], s9, v100, v[12:13]
	v_mul_f64 v[12:13], v[16:17], s[4:5]
	s_waitcnt lgkmcnt(0)
	v_mul_f64 v[16:17], v[10:11], v[22:23]
	v_mov_b32_e32 v30, v18
	v_mul_f64 v[14:15], v[14:15], s[4:5]
	v_lshlrev_b64 v[18:19], 4, v[24:25]
	v_mul_f64 v[10:11], v[10:11], v[20:21]
	v_mov_b32_e32 v24, s3
	v_add_co_u32_e64 v25, s[0:1], s2, v18
	v_fma_f64 v[16:17], v[8:9], v[20:21], v[16:17]
	v_addc_co_u32_e64 v24, s[0:1], v24, v19, s[0:1]
	v_lshlrev_b64 v[18:19], 4, v[29:30]
	v_fma_f64 v[10:11], v[8:9], v[22:23], -v[10:11]
	v_add_co_u32_e64 v20, s[0:1], v25, v18
	v_addc_co_u32_e64 v21, s[0:1], v24, v19, s[0:1]
	global_store_dwordx4 v[20:21], v[12:15], off
	ds_read_b128 v[12:15], v99 offset:1568
	v_mul_f64 v[8:9], v[16:17], s[4:5]
	ds_read_b128 v[16:19], v99 offset:2352
	v_mul_f64 v[10:11], v[10:11], s[4:5]
	s_mul_i32 s0, s9, 49
	s_waitcnt lgkmcnt(1)
	v_mul_f64 v[22:23], v[2:3], v[14:15]
	v_mul_f64 v[2:3], v[2:3], v[12:13]
	s_waitcnt lgkmcnt(0)
	v_mul_f64 v[24:25], v[6:7], v[18:19]
	v_mul_f64 v[6:7], v[6:7], v[16:17]
	s_mul_hi_u32 s1, s8, 49
	s_add_i32 s1, s1, s0
	s_mul_i32 s0, s8, 49
	s_lshl_b64 s[2:3], s[0:1], 4
	v_fma_f64 v[12:13], v[0:1], v[12:13], v[22:23]
	v_fma_f64 v[2:3], v[0:1], v[14:15], -v[2:3]
	v_fma_f64 v[14:15], v[4:5], v[16:17], v[24:25]
	v_fma_f64 v[6:7], v[4:5], v[18:19], -v[6:7]
	v_mov_b32_e32 v26, s3
	v_add_co_u32_e64 v16, s[0:1], s2, v20
	v_addc_co_u32_e64 v17, s[0:1], v21, v26, s[0:1]
	v_mul_f64 v[0:1], v[12:13], s[4:5]
	v_mul_f64 v[2:3], v[2:3], s[4:5]
	;; [unrolled: 1-line block ×4, first 2 shown]
	global_store_dwordx4 v[16:17], v[8:11], off
	s_nop 0
	v_add_co_u32_e64 v8, s[0:1], s2, v16
	v_addc_co_u32_e64 v9, s[0:1], v17, v26, s[0:1]
	global_store_dwordx4 v[8:9], v[0:3], off
	s_nop 0
	v_add_co_u32_e64 v0, s[0:1], s2, v8
	v_addc_co_u32_e64 v1, s[0:1], v9, v26, s[0:1]
	global_store_dwordx4 v[0:1], v[4:7], off
	s_and_b64 exec, exec, vcc
	s_cbranch_execz .LBB0_15
; %bb.14:
	global_load_dwordx4 v[2:5], v[96:97], off offset:448
	global_load_dwordx4 v[6:9], v[96:97], off offset:1232
	;; [unrolled: 1-line block ×4, first 2 shown]
	ds_read_b128 v[18:21], v99 offset:448
	ds_read_b128 v[22:25], v99 offset:1232
	v_mov_b32_e32 v26, 0xfffff890
	v_mad_u64_u32 v[34:35], s[0:1], s8, v26, v[0:1]
	ds_read_b128 v[26:29], v99 offset:2016
	ds_read_b128 v[30:33], v99 offset:2800
	s_mul_i32 s6, s9, 0xfffff890
	s_sub_i32 s0, s6, s8
	v_mov_b32_e32 v46, s3
	v_add_u32_e32 v35, s0, v35
	v_add_co_u32_e32 v36, vcc, s2, v34
	v_addc_co_u32_e32 v37, vcc, v35, v46, vcc
	v_add_co_u32_e32 v38, vcc, s2, v36
	v_addc_co_u32_e32 v39, vcc, v37, v46, vcc
	s_waitcnt vmcnt(3) lgkmcnt(3)
	v_mul_f64 v[0:1], v[20:21], v[4:5]
	v_mul_f64 v[4:5], v[18:19], v[4:5]
	s_waitcnt vmcnt(2) lgkmcnt(2)
	v_mul_f64 v[40:41], v[24:25], v[8:9]
	v_mul_f64 v[8:9], v[22:23], v[8:9]
	;; [unrolled: 3-line block ×4, first 2 shown]
	v_fma_f64 v[0:1], v[18:19], v[2:3], v[0:1]
	v_fma_f64 v[2:3], v[2:3], v[20:21], -v[4:5]
	v_fma_f64 v[4:5], v[22:23], v[6:7], v[40:41]
	v_fma_f64 v[6:7], v[6:7], v[24:25], -v[8:9]
	;; [unrolled: 2-line block ×4, first 2 shown]
	v_mul_f64 v[0:1], v[0:1], s[4:5]
	v_mul_f64 v[2:3], v[2:3], s[4:5]
	;; [unrolled: 1-line block ×8, first 2 shown]
	v_add_co_u32_e32 v16, vcc, s2, v38
	v_addc_co_u32_e32 v17, vcc, v39, v46, vcc
	global_store_dwordx4 v[34:35], v[0:3], off
	global_store_dwordx4 v[36:37], v[4:7], off
	;; [unrolled: 1-line block ×4, first 2 shown]
.LBB0_15:
	s_endpgm
	.section	.rodata,"a",@progbits
	.p2align	6, 0x0
	.amdhsa_kernel bluestein_single_back_len196_dim1_dp_op_CI_CI
		.amdhsa_group_segment_fixed_size 6272
		.amdhsa_private_segment_fixed_size 0
		.amdhsa_kernarg_size 104
		.amdhsa_user_sgpr_count 6
		.amdhsa_user_sgpr_private_segment_buffer 1
		.amdhsa_user_sgpr_dispatch_ptr 0
		.amdhsa_user_sgpr_queue_ptr 0
		.amdhsa_user_sgpr_kernarg_segment_ptr 1
		.amdhsa_user_sgpr_dispatch_id 0
		.amdhsa_user_sgpr_flat_scratch_init 0
		.amdhsa_user_sgpr_private_segment_size 0
		.amdhsa_uses_dynamic_stack 0
		.amdhsa_system_sgpr_private_segment_wavefront_offset 0
		.amdhsa_system_sgpr_workgroup_id_x 1
		.amdhsa_system_sgpr_workgroup_id_y 0
		.amdhsa_system_sgpr_workgroup_id_z 0
		.amdhsa_system_sgpr_workgroup_info 0
		.amdhsa_system_vgpr_workitem_id 0
		.amdhsa_next_free_vgpr 124
		.amdhsa_next_free_sgpr 31
		.amdhsa_reserve_vcc 1
		.amdhsa_reserve_flat_scratch 0
		.amdhsa_float_round_mode_32 0
		.amdhsa_float_round_mode_16_64 0
		.amdhsa_float_denorm_mode_32 3
		.amdhsa_float_denorm_mode_16_64 3
		.amdhsa_dx10_clamp 1
		.amdhsa_ieee_mode 1
		.amdhsa_fp16_overflow 0
		.amdhsa_exception_fp_ieee_invalid_op 0
		.amdhsa_exception_fp_denorm_src 0
		.amdhsa_exception_fp_ieee_div_zero 0
		.amdhsa_exception_fp_ieee_overflow 0
		.amdhsa_exception_fp_ieee_underflow 0
		.amdhsa_exception_fp_ieee_inexact 0
		.amdhsa_exception_int_div_zero 0
	.end_amdhsa_kernel
	.text
.Lfunc_end0:
	.size	bluestein_single_back_len196_dim1_dp_op_CI_CI, .Lfunc_end0-bluestein_single_back_len196_dim1_dp_op_CI_CI
                                        ; -- End function
	.section	.AMDGPU.csdata,"",@progbits
; Kernel info:
; codeLenInByte = 7432
; NumSgprs: 35
; NumVgprs: 124
; ScratchSize: 0
; MemoryBound: 0
; FloatMode: 240
; IeeeMode: 1
; LDSByteSize: 6272 bytes/workgroup (compile time only)
; SGPRBlocks: 4
; VGPRBlocks: 30
; NumSGPRsForWavesPerEU: 35
; NumVGPRsForWavesPerEU: 124
; Occupancy: 2
; WaveLimiterHint : 1
; COMPUTE_PGM_RSRC2:SCRATCH_EN: 0
; COMPUTE_PGM_RSRC2:USER_SGPR: 6
; COMPUTE_PGM_RSRC2:TRAP_HANDLER: 0
; COMPUTE_PGM_RSRC2:TGID_X_EN: 1
; COMPUTE_PGM_RSRC2:TGID_Y_EN: 0
; COMPUTE_PGM_RSRC2:TGID_Z_EN: 0
; COMPUTE_PGM_RSRC2:TIDIG_COMP_CNT: 0
	.type	__hip_cuid_5a0d247d16559a7e,@object ; @__hip_cuid_5a0d247d16559a7e
	.section	.bss,"aw",@nobits
	.globl	__hip_cuid_5a0d247d16559a7e
__hip_cuid_5a0d247d16559a7e:
	.byte	0                               ; 0x0
	.size	__hip_cuid_5a0d247d16559a7e, 1

	.ident	"AMD clang version 19.0.0git (https://github.com/RadeonOpenCompute/llvm-project roc-6.4.0 25133 c7fe45cf4b819c5991fe208aaa96edf142730f1d)"
	.section	".note.GNU-stack","",@progbits
	.addrsig
	.addrsig_sym __hip_cuid_5a0d247d16559a7e
	.amdgpu_metadata
---
amdhsa.kernels:
  - .args:
      - .actual_access:  read_only
        .address_space:  global
        .offset:         0
        .size:           8
        .value_kind:     global_buffer
      - .actual_access:  read_only
        .address_space:  global
        .offset:         8
        .size:           8
        .value_kind:     global_buffer
      - .actual_access:  read_only
        .address_space:  global
        .offset:         16
        .size:           8
        .value_kind:     global_buffer
      - .actual_access:  read_only
        .address_space:  global
        .offset:         24
        .size:           8
        .value_kind:     global_buffer
      - .actual_access:  read_only
        .address_space:  global
        .offset:         32
        .size:           8
        .value_kind:     global_buffer
      - .offset:         40
        .size:           8
        .value_kind:     by_value
      - .address_space:  global
        .offset:         48
        .size:           8
        .value_kind:     global_buffer
      - .address_space:  global
        .offset:         56
        .size:           8
        .value_kind:     global_buffer
      - .address_space:  global
        .offset:         64
        .size:           8
        .value_kind:     global_buffer
      - .address_space:  global
        .offset:         72
        .size:           8
        .value_kind:     global_buffer
      - .offset:         80
        .size:           4
        .value_kind:     by_value
      - .address_space:  global
        .offset:         88
        .size:           8
        .value_kind:     global_buffer
      - .address_space:  global
        .offset:         96
        .size:           8
        .value_kind:     global_buffer
    .group_segment_fixed_size: 6272
    .kernarg_segment_align: 8
    .kernarg_segment_size: 104
    .language:       OpenCL C
    .language_version:
      - 2
      - 0
    .max_flat_workgroup_size: 56
    .name:           bluestein_single_back_len196_dim1_dp_op_CI_CI
    .private_segment_fixed_size: 0
    .sgpr_count:     35
    .sgpr_spill_count: 0
    .symbol:         bluestein_single_back_len196_dim1_dp_op_CI_CI.kd
    .uniform_work_group_size: 1
    .uses_dynamic_stack: false
    .vgpr_count:     124
    .vgpr_spill_count: 0
    .wavefront_size: 64
amdhsa.target:   amdgcn-amd-amdhsa--gfx906
amdhsa.version:
  - 1
  - 2
...

	.end_amdgpu_metadata
